;; amdgpu-corpus repo=ROCm/rocFFT kind=compiled arch=gfx1201 opt=O3
	.text
	.amdgcn_target "amdgcn-amd-amdhsa--gfx1201"
	.amdhsa_code_object_version 6
	.protected	fft_rtc_back_len728_factors_13_7_8_wgs_104_tpt_104_halfLds_dp_ip_CI_sbrr_dirReg ; -- Begin function fft_rtc_back_len728_factors_13_7_8_wgs_104_tpt_104_halfLds_dp_ip_CI_sbrr_dirReg
	.globl	fft_rtc_back_len728_factors_13_7_8_wgs_104_tpt_104_halfLds_dp_ip_CI_sbrr_dirReg
	.p2align	8
	.type	fft_rtc_back_len728_factors_13_7_8_wgs_104_tpt_104_halfLds_dp_ip_CI_sbrr_dirReg,@function
fft_rtc_back_len728_factors_13_7_8_wgs_104_tpt_104_halfLds_dp_ip_CI_sbrr_dirReg: ; @fft_rtc_back_len728_factors_13_7_8_wgs_104_tpt_104_halfLds_dp_ip_CI_sbrr_dirReg
; %bb.0:
	s_clause 0x2
	s_load_b64 s[12:13], s[0:1], 0x18
	s_load_b128 s[4:7], s[0:1], 0x0
	s_load_b64 s[10:11], s[0:1], 0x50
	v_mul_u32_u24_e32 v1, 0x277, v0
	v_mov_b32_e32 v3, 0
	s_delay_alu instid0(VALU_DEP_2) | instskip(NEXT) | instid1(VALU_DEP_1)
	v_lshrrev_b32_e32 v1, 16, v1
	v_add_nc_u32_e32 v5, ttmp9, v1
	v_mov_b32_e32 v1, 0
	v_mov_b32_e32 v2, 0
	;; [unrolled: 1-line block ×3, first 2 shown]
	s_wait_kmcnt 0x0
	s_load_b64 s[8:9], s[12:13], 0x0
	v_cmp_lt_u64_e64 s2, s[6:7], 2
	s_delay_alu instid0(VALU_DEP_1)
	s_and_b32 vcc_lo, exec_lo, s2
	s_cbranch_vccnz .LBB0_8
; %bb.1:
	s_load_b64 s[2:3], s[0:1], 0x10
	v_mov_b32_e32 v1, 0
	v_mov_b32_e32 v2, 0
	s_add_nc_u64 s[14:15], s[12:13], 8
	s_mov_b64 s[16:17], 1
	s_wait_kmcnt 0x0
	s_add_nc_u64 s[18:19], s[2:3], 8
	s_mov_b32 s3, 0
.LBB0_2:                                ; =>This Inner Loop Header: Depth=1
	s_load_b64 s[20:21], s[18:19], 0x0
                                        ; implicit-def: $vgpr7_vgpr8
	s_mov_b32 s2, exec_lo
	s_wait_kmcnt 0x0
	v_or_b32_e32 v4, s21, v6
	s_delay_alu instid0(VALU_DEP_1)
	v_cmpx_ne_u64_e32 0, v[3:4]
	s_wait_alu 0xfffe
	s_xor_b32 s22, exec_lo, s2
	s_cbranch_execz .LBB0_4
; %bb.3:                                ;   in Loop: Header=BB0_2 Depth=1
	s_cvt_f32_u32 s2, s20
	s_cvt_f32_u32 s23, s21
	s_sub_nc_u64 s[26:27], 0, s[20:21]
	s_wait_alu 0xfffe
	s_delay_alu instid0(SALU_CYCLE_1) | instskip(SKIP_1) | instid1(SALU_CYCLE_2)
	s_fmamk_f32 s2, s23, 0x4f800000, s2
	s_wait_alu 0xfffe
	v_s_rcp_f32 s2, s2
	s_delay_alu instid0(TRANS32_DEP_1) | instskip(SKIP_1) | instid1(SALU_CYCLE_2)
	s_mul_f32 s2, s2, 0x5f7ffffc
	s_wait_alu 0xfffe
	s_mul_f32 s23, s2, 0x2f800000
	s_wait_alu 0xfffe
	s_delay_alu instid0(SALU_CYCLE_2) | instskip(SKIP_1) | instid1(SALU_CYCLE_2)
	s_trunc_f32 s23, s23
	s_wait_alu 0xfffe
	s_fmamk_f32 s2, s23, 0xcf800000, s2
	s_cvt_u32_f32 s25, s23
	s_wait_alu 0xfffe
	s_delay_alu instid0(SALU_CYCLE_1) | instskip(SKIP_1) | instid1(SALU_CYCLE_2)
	s_cvt_u32_f32 s24, s2
	s_wait_alu 0xfffe
	s_mul_u64 s[28:29], s[26:27], s[24:25]
	s_wait_alu 0xfffe
	s_mul_hi_u32 s31, s24, s29
	s_mul_i32 s30, s24, s29
	s_mul_hi_u32 s2, s24, s28
	s_mul_i32 s33, s25, s28
	s_wait_alu 0xfffe
	s_add_nc_u64 s[30:31], s[2:3], s[30:31]
	s_mul_hi_u32 s23, s25, s28
	s_mul_hi_u32 s34, s25, s29
	s_add_co_u32 s2, s30, s33
	s_wait_alu 0xfffe
	s_add_co_ci_u32 s2, s31, s23
	s_mul_i32 s28, s25, s29
	s_add_co_ci_u32 s29, s34, 0
	s_wait_alu 0xfffe
	s_add_nc_u64 s[28:29], s[2:3], s[28:29]
	s_wait_alu 0xfffe
	v_add_co_u32 v4, s2, s24, s28
	s_delay_alu instid0(VALU_DEP_1) | instskip(SKIP_1) | instid1(VALU_DEP_1)
	s_cmp_lg_u32 s2, 0
	s_add_co_ci_u32 s25, s25, s29
	v_readfirstlane_b32 s24, v4
	s_wait_alu 0xfffe
	s_delay_alu instid0(VALU_DEP_1)
	s_mul_u64 s[26:27], s[26:27], s[24:25]
	s_wait_alu 0xfffe
	s_mul_hi_u32 s29, s24, s27
	s_mul_i32 s28, s24, s27
	s_mul_hi_u32 s2, s24, s26
	s_mul_i32 s30, s25, s26
	s_wait_alu 0xfffe
	s_add_nc_u64 s[28:29], s[2:3], s[28:29]
	s_mul_hi_u32 s23, s25, s26
	s_mul_hi_u32 s24, s25, s27
	s_wait_alu 0xfffe
	s_add_co_u32 s2, s28, s30
	s_add_co_ci_u32 s2, s29, s23
	s_mul_i32 s26, s25, s27
	s_add_co_ci_u32 s27, s24, 0
	s_wait_alu 0xfffe
	s_add_nc_u64 s[26:27], s[2:3], s[26:27]
	s_wait_alu 0xfffe
	v_add_co_u32 v4, s2, v4, s26
	s_delay_alu instid0(VALU_DEP_1) | instskip(SKIP_1) | instid1(VALU_DEP_1)
	s_cmp_lg_u32 s2, 0
	s_add_co_ci_u32 s2, s25, s27
	v_mul_hi_u32 v13, v5, v4
	s_wait_alu 0xfffe
	v_mad_co_u64_u32 v[7:8], null, v5, s2, 0
	v_mad_co_u64_u32 v[9:10], null, v6, v4, 0
	;; [unrolled: 1-line block ×3, first 2 shown]
	s_delay_alu instid0(VALU_DEP_3) | instskip(SKIP_1) | instid1(VALU_DEP_4)
	v_add_co_u32 v4, vcc_lo, v13, v7
	s_wait_alu 0xfffd
	v_add_co_ci_u32_e32 v7, vcc_lo, 0, v8, vcc_lo
	s_delay_alu instid0(VALU_DEP_2) | instskip(SKIP_1) | instid1(VALU_DEP_2)
	v_add_co_u32 v4, vcc_lo, v4, v9
	s_wait_alu 0xfffd
	v_add_co_ci_u32_e32 v4, vcc_lo, v7, v10, vcc_lo
	s_wait_alu 0xfffd
	v_add_co_ci_u32_e32 v7, vcc_lo, 0, v12, vcc_lo
	s_delay_alu instid0(VALU_DEP_2) | instskip(SKIP_1) | instid1(VALU_DEP_2)
	v_add_co_u32 v4, vcc_lo, v4, v11
	s_wait_alu 0xfffd
	v_add_co_ci_u32_e32 v9, vcc_lo, 0, v7, vcc_lo
	s_delay_alu instid0(VALU_DEP_2) | instskip(SKIP_1) | instid1(VALU_DEP_3)
	v_mul_lo_u32 v10, s21, v4
	v_mad_co_u64_u32 v[7:8], null, s20, v4, 0
	v_mul_lo_u32 v11, s20, v9
	s_delay_alu instid0(VALU_DEP_2) | instskip(NEXT) | instid1(VALU_DEP_2)
	v_sub_co_u32 v7, vcc_lo, v5, v7
	v_add3_u32 v8, v8, v11, v10
	s_delay_alu instid0(VALU_DEP_1) | instskip(SKIP_1) | instid1(VALU_DEP_1)
	v_sub_nc_u32_e32 v10, v6, v8
	s_wait_alu 0xfffd
	v_subrev_co_ci_u32_e64 v10, s2, s21, v10, vcc_lo
	v_add_co_u32 v11, s2, v4, 2
	s_wait_alu 0xf1ff
	v_add_co_ci_u32_e64 v12, s2, 0, v9, s2
	v_sub_co_u32 v13, s2, v7, s20
	v_sub_co_ci_u32_e32 v8, vcc_lo, v6, v8, vcc_lo
	s_wait_alu 0xf1ff
	v_subrev_co_ci_u32_e64 v10, s2, 0, v10, s2
	s_delay_alu instid0(VALU_DEP_3) | instskip(NEXT) | instid1(VALU_DEP_3)
	v_cmp_le_u32_e32 vcc_lo, s20, v13
	v_cmp_eq_u32_e64 s2, s21, v8
	s_wait_alu 0xfffd
	v_cndmask_b32_e64 v13, 0, -1, vcc_lo
	v_cmp_le_u32_e32 vcc_lo, s21, v10
	s_wait_alu 0xfffd
	v_cndmask_b32_e64 v14, 0, -1, vcc_lo
	v_cmp_le_u32_e32 vcc_lo, s20, v7
	;; [unrolled: 3-line block ×3, first 2 shown]
	s_wait_alu 0xfffd
	v_cndmask_b32_e64 v15, 0, -1, vcc_lo
	v_cmp_eq_u32_e32 vcc_lo, s21, v10
	s_wait_alu 0xf1ff
	s_delay_alu instid0(VALU_DEP_2)
	v_cndmask_b32_e64 v7, v15, v7, s2
	s_wait_alu 0xfffd
	v_cndmask_b32_e32 v10, v14, v13, vcc_lo
	v_add_co_u32 v13, vcc_lo, v4, 1
	s_wait_alu 0xfffd
	v_add_co_ci_u32_e32 v14, vcc_lo, 0, v9, vcc_lo
	s_delay_alu instid0(VALU_DEP_3) | instskip(SKIP_2) | instid1(VALU_DEP_3)
	v_cmp_ne_u32_e32 vcc_lo, 0, v10
	s_wait_alu 0xfffd
	v_cndmask_b32_e32 v10, v13, v11, vcc_lo
	v_cndmask_b32_e32 v8, v14, v12, vcc_lo
	v_cmp_ne_u32_e32 vcc_lo, 0, v7
	s_wait_alu 0xfffd
	s_delay_alu instid0(VALU_DEP_2)
	v_dual_cndmask_b32 v7, v4, v10 :: v_dual_cndmask_b32 v8, v9, v8
.LBB0_4:                                ;   in Loop: Header=BB0_2 Depth=1
	s_wait_alu 0xfffe
	s_and_not1_saveexec_b32 s2, s22
	s_cbranch_execz .LBB0_6
; %bb.5:                                ;   in Loop: Header=BB0_2 Depth=1
	v_cvt_f32_u32_e32 v4, s20
	s_sub_co_i32 s22, 0, s20
	s_delay_alu instid0(VALU_DEP_1) | instskip(NEXT) | instid1(TRANS32_DEP_1)
	v_rcp_iflag_f32_e32 v4, v4
	v_mul_f32_e32 v4, 0x4f7ffffe, v4
	s_delay_alu instid0(VALU_DEP_1) | instskip(SKIP_1) | instid1(VALU_DEP_1)
	v_cvt_u32_f32_e32 v4, v4
	s_wait_alu 0xfffe
	v_mul_lo_u32 v7, s22, v4
	s_delay_alu instid0(VALU_DEP_1) | instskip(NEXT) | instid1(VALU_DEP_1)
	v_mul_hi_u32 v7, v4, v7
	v_add_nc_u32_e32 v4, v4, v7
	s_delay_alu instid0(VALU_DEP_1) | instskip(NEXT) | instid1(VALU_DEP_1)
	v_mul_hi_u32 v4, v5, v4
	v_mul_lo_u32 v7, v4, s20
	v_add_nc_u32_e32 v8, 1, v4
	s_delay_alu instid0(VALU_DEP_2) | instskip(NEXT) | instid1(VALU_DEP_1)
	v_sub_nc_u32_e32 v7, v5, v7
	v_subrev_nc_u32_e32 v9, s20, v7
	v_cmp_le_u32_e32 vcc_lo, s20, v7
	s_wait_alu 0xfffd
	s_delay_alu instid0(VALU_DEP_2) | instskip(NEXT) | instid1(VALU_DEP_1)
	v_dual_cndmask_b32 v7, v7, v9 :: v_dual_cndmask_b32 v4, v4, v8
	v_cmp_le_u32_e32 vcc_lo, s20, v7
	s_delay_alu instid0(VALU_DEP_2) | instskip(SKIP_1) | instid1(VALU_DEP_1)
	v_add_nc_u32_e32 v8, 1, v4
	s_wait_alu 0xfffd
	v_dual_cndmask_b32 v7, v4, v8 :: v_dual_mov_b32 v8, v3
.LBB0_6:                                ;   in Loop: Header=BB0_2 Depth=1
	s_wait_alu 0xfffe
	s_or_b32 exec_lo, exec_lo, s2
	s_load_b64 s[22:23], s[14:15], 0x0
	s_delay_alu instid0(VALU_DEP_1)
	v_mul_lo_u32 v4, v8, s20
	v_mul_lo_u32 v11, v7, s21
	v_mad_co_u64_u32 v[9:10], null, v7, s20, 0
	s_add_nc_u64 s[16:17], s[16:17], 1
	s_add_nc_u64 s[14:15], s[14:15], 8
	s_wait_alu 0xfffe
	v_cmp_ge_u64_e64 s2, s[16:17], s[6:7]
	s_add_nc_u64 s[18:19], s[18:19], 8
	s_delay_alu instid0(VALU_DEP_2) | instskip(NEXT) | instid1(VALU_DEP_3)
	v_add3_u32 v4, v10, v11, v4
	v_sub_co_u32 v5, vcc_lo, v5, v9
	s_wait_alu 0xfffd
	s_delay_alu instid0(VALU_DEP_2) | instskip(SKIP_3) | instid1(VALU_DEP_2)
	v_sub_co_ci_u32_e32 v4, vcc_lo, v6, v4, vcc_lo
	s_and_b32 vcc_lo, exec_lo, s2
	s_wait_kmcnt 0x0
	v_mul_lo_u32 v6, s23, v5
	v_mul_lo_u32 v4, s22, v4
	v_mad_co_u64_u32 v[1:2], null, s22, v5, v[1:2]
	s_delay_alu instid0(VALU_DEP_1)
	v_add3_u32 v2, v6, v2, v4
	s_wait_alu 0xfffe
	s_cbranch_vccnz .LBB0_9
; %bb.7:                                ;   in Loop: Header=BB0_2 Depth=1
	v_dual_mov_b32 v5, v7 :: v_dual_mov_b32 v6, v8
	s_branch .LBB0_2
.LBB0_8:
	v_dual_mov_b32 v8, v6 :: v_dual_mov_b32 v7, v5
.LBB0_9:
	s_lshl_b64 s[2:3], s[6:7], 3
	v_mul_hi_u32 v3, 0x2762763, v0
	s_wait_alu 0xfffe
	s_add_nc_u64 s[2:3], s[12:13], s[2:3]
                                        ; implicit-def: $vgpr30_vgpr31
                                        ; implicit-def: $vgpr46_vgpr47
                                        ; implicit-def: $vgpr54_vgpr55
                                        ; implicit-def: $vgpr42_vgpr43
                                        ; implicit-def: $vgpr10_vgpr11
                                        ; implicit-def: $vgpr14_vgpr15
                                        ; implicit-def: $vgpr18_vgpr19
                                        ; implicit-def: $vgpr22_vgpr23
                                        ; implicit-def: $vgpr26_vgpr27
                                        ; implicit-def: $vgpr34_vgpr35
                                        ; implicit-def: $vgpr38_vgpr39
                                        ; implicit-def: $vgpr50_vgpr51
	s_load_b64 s[2:3], s[2:3], 0x0
	s_load_b64 s[0:1], s[0:1], 0x20
	s_delay_alu instid0(VALU_DEP_1) | instskip(NEXT) | instid1(VALU_DEP_1)
	v_mul_u32_u24_e32 v3, 0x68, v3
	v_sub_nc_u32_e32 v92, v0, v3
	s_wait_kmcnt 0x0
	v_mul_lo_u32 v4, s2, v8
	v_mul_lo_u32 v5, s3, v7
	v_mad_co_u64_u32 v[1:2], null, s2, v7, v[1:2]
	v_cmp_gt_u64_e32 vcc_lo, s[0:1], v[7:8]
	v_cmp_gt_u32_e64 s0, 56, v92
                                        ; implicit-def: $vgpr6_vgpr7
	s_delay_alu instid0(VALU_DEP_1) | instskip(NEXT) | instid1(VALU_DEP_3)
	s_and_b32 s1, vcc_lo, s0
	v_add3_u32 v2, v5, v2, v4
	s_delay_alu instid0(VALU_DEP_1)
	v_lshlrev_b64_e32 v[68:69], 4, v[1:2]
	s_wait_alu 0xfffe
	s_and_saveexec_b32 s2, s1
	s_cbranch_execz .LBB0_11
; %bb.10:
	v_add_nc_u32_e32 v6, 56, v92
	v_mad_co_u64_u32 v[0:1], null, s8, v92, 0
	v_add_nc_u32_e32 v7, 0x70, v92
	v_add_co_u32 v21, s1, s10, v68
	s_delay_alu instid0(VALU_DEP_4) | instskip(NEXT) | instid1(VALU_DEP_3)
	v_mad_co_u64_u32 v[2:3], null, s8, v6, 0
	v_mad_co_u64_u32 v[8:9], null, s8, v7, 0
	s_wait_alu 0xf1ff
	v_add_co_ci_u32_e64 v22, s1, s11, v69, s1
	v_add_nc_u32_e32 v19, 0x188, v92
	v_add_nc_u32_e32 v23, 0x268, v92
	v_mad_co_u64_u32 v[4:5], null, s9, v92, v[1:2]
	v_dual_mov_b32 v1, v3 :: v_dual_add_nc_u32 v12, 0xa8, v92
	v_add_nc_u32_e32 v16, 0x118, v92
	v_add_nc_u32_e32 v20, 0x230, v92
	;; [unrolled: 1-line block ×3, first 2 shown]
	s_delay_alu instid0(VALU_DEP_4) | instskip(SKIP_4) | instid1(VALU_DEP_4)
	v_mad_co_u64_u32 v[5:6], null, s9, v6, v[1:2]
	v_mov_b32_e32 v1, v4
	v_mad_co_u64_u32 v[10:11], null, s8, v12, 0
	v_add_nc_u32_e32 v14, 0xe0, v92
	v_mov_b32_e32 v4, v9
	v_lshlrev_b64_e32 v[0:1], 4, v[0:1]
	v_mov_b32_e32 v3, v5
	v_mov_b32_e32 v5, v11
	s_delay_alu instid0(VALU_DEP_2) | instskip(NEXT) | instid1(VALU_DEP_4)
	v_lshlrev_b64_e32 v[2:3], 4, v[2:3]
	v_add_co_u32 v0, s1, v21, v0
	s_delay_alu instid0(VALU_DEP_3) | instskip(SKIP_2) | instid1(VALU_DEP_4)
	v_mad_co_u64_u32 v[6:7], null, s9, v7, v[4:5]
	s_wait_alu 0xf1ff
	v_add_co_ci_u32_e64 v1, s1, v22, v1, s1
	v_add_co_u32 v2, s1, v21, v2
	s_wait_alu 0xf1ff
	v_add_co_ci_u32_e64 v3, s1, v22, v3, s1
	s_delay_alu instid0(VALU_DEP_4)
	v_mad_co_u64_u32 v[11:12], null, s9, v12, v[5:6]
	v_mad_co_u64_u32 v[12:13], null, s8, v14, 0
	v_mov_b32_e32 v9, v6
	s_clause 0x1
	global_load_b128 v[4:7], v[0:1], off
	global_load_b128 v[28:31], v[2:3], off
	v_lshlrev_b64_e32 v[10:11], 4, v[10:11]
	v_mov_b32_e32 v2, v13
	v_lshlrev_b64_e32 v[0:1], 4, v[8:9]
	v_mad_co_u64_u32 v[8:9], null, s8, v16, 0
	v_add_nc_u32_e32 v18, 0x150, v92
	s_delay_alu instid0(VALU_DEP_4) | instskip(NEXT) | instid1(VALU_DEP_4)
	v_mad_co_u64_u32 v[2:3], null, s9, v14, v[2:3]
	v_add_co_u32 v0, s1, v21, v0
	s_wait_alu 0xf1ff
	v_add_co_ci_u32_e64 v1, s1, v22, v1, s1
	v_mov_b32_e32 v3, v9
	v_mad_co_u64_u32 v[14:15], null, s8, v18, 0
	v_mov_b32_e32 v13, v2
	v_add_co_u32 v9, s1, v21, v10
	s_wait_alu 0xf1ff
	v_add_co_ci_u32_e64 v10, s1, v22, v11, s1
	s_clause 0x1
	global_load_b128 v[48:51], v[0:1], off
	global_load_b128 v[44:47], v[9:10], off
	s_wait_loadcnt 0x3
	v_mad_co_u64_u32 v[2:3], null, s9, v16, v[3:4]
	v_mad_co_u64_u32 v[16:17], null, s8, v19, 0
	v_mov_b32_e32 v3, v15
	s_delay_alu instid0(VALU_DEP_3) | instskip(NEXT) | instid1(VALU_DEP_2)
	v_mov_b32_e32 v9, v2
	v_mad_co_u64_u32 v[10:11], null, s9, v18, v[3:4]
	s_delay_alu instid0(VALU_DEP_4) | instskip(SKIP_3) | instid1(VALU_DEP_4)
	v_mov_b32_e32 v2, v17
	v_add_nc_u32_e32 v18, 0x1f8, v92
	v_lshlrev_b64_e32 v[0:1], 4, v[12:13]
	v_lshlrev_b64_e32 v[8:9], 4, v[8:9]
	v_mad_co_u64_u32 v[2:3], null, s9, v19, v[2:3]
	v_or_b32_e32 v3, 0x1c0, v92
	v_mov_b32_e32 v15, v10
	v_add_co_u32 v0, s1, v21, v0
	s_wait_alu 0xf1ff
	v_add_co_ci_u32_e64 v1, s1, v22, v1, s1
	v_mad_co_u64_u32 v[12:13], null, s8, v3, 0
	v_add_co_u32 v8, s1, v21, v8
	v_lshlrev_b64_e32 v[10:11], 4, v[14:15]
	s_wait_alu 0xf1ff
	v_add_co_ci_u32_e64 v9, s1, v22, v9, s1
	s_delay_alu instid0(VALU_DEP_4)
	v_dual_mov_b32 v17, v2 :: v_dual_mov_b32 v2, v13
	s_clause 0x1
	global_load_b128 v[52:55], v[0:1], off
	global_load_b128 v[36:39], v[8:9], off
	v_add_co_u32 v0, s1, v21, v10
	s_wait_alu 0xf1ff
	v_add_co_ci_u32_e64 v1, s1, v22, v11, s1
	v_mad_co_u64_u32 v[2:3], null, s9, v3, v[2:3]
	v_mad_co_u64_u32 v[10:11], null, s8, v18, 0
	;; [unrolled: 1-line block ×3, first 2 shown]
	v_lshlrev_b64_e32 v[8:9], 4, v[16:17]
	v_mad_co_u64_u32 v[16:17], null, s8, v23, 0
	s_delay_alu instid0(VALU_DEP_4) | instskip(NEXT) | instid1(VALU_DEP_4)
	v_dual_mov_b32 v13, v2 :: v_dual_mov_b32 v2, v11
	v_mov_b32_e32 v3, v15
	s_delay_alu instid0(VALU_DEP_4) | instskip(SKIP_2) | instid1(VALU_DEP_3)
	v_add_co_u32 v8, s1, v21, v8
	s_wait_alu 0xf1ff
	v_add_co_ci_u32_e64 v9, s1, v22, v9, s1
	v_mad_co_u64_u32 v[18:19], null, s9, v18, v[2:3]
	v_mad_co_u64_u32 v[2:3], null, s9, v20, v[3:4]
	;; [unrolled: 1-line block ×3, first 2 shown]
	s_clause 0x1
	global_load_b128 v[40:43], v[0:1], off
	global_load_b128 v[32:35], v[8:9], off
	v_mov_b32_e32 v0, v17
	v_lshlrev_b64_e32 v[8:9], 4, v[12:13]
	v_mov_b32_e32 v11, v18
	v_mov_b32_e32 v15, v2
	s_delay_alu instid0(VALU_DEP_4)
	v_mad_co_u64_u32 v[0:1], null, s9, v23, v[0:1]
	v_mov_b32_e32 v1, v20
	v_add_co_u32 v2, s1, v21, v8
	s_wait_alu 0xf1ff
	v_add_co_ci_u32_e64 v3, s1, v22, v9, s1
	v_lshlrev_b64_e32 v[8:9], 4, v[10:11]
	s_delay_alu instid0(VALU_DEP_3) | instskip(SKIP_2) | instid1(VALU_DEP_4)
	v_mad_co_u64_u32 v[10:11], null, s9, v24, v[1:2]
	v_lshlrev_b64_e32 v[11:12], 4, v[14:15]
	v_mov_b32_e32 v17, v0
	v_add_co_u32 v0, s1, v21, v8
	s_wait_alu 0xf1ff
	v_add_co_ci_u32_e64 v1, s1, v22, v9, s1
	v_mov_b32_e32 v20, v10
	v_lshlrev_b64_e32 v[8:9], 4, v[16:17]
	v_add_co_u32 v10, s1, v21, v11
	s_wait_alu 0xf1ff
	v_add_co_ci_u32_e64 v11, s1, v22, v12, s1
	v_lshlrev_b64_e32 v[12:13], 4, v[19:20]
	s_delay_alu instid0(VALU_DEP_4) | instskip(SKIP_2) | instid1(VALU_DEP_3)
	v_add_co_u32 v8, s1, v21, v8
	s_wait_alu 0xf1ff
	v_add_co_ci_u32_e64 v9, s1, v22, v9, s1
	v_add_co_u32 v56, s1, v21, v12
	s_wait_alu 0xf1ff
	v_add_co_ci_u32_e64 v57, s1, v22, v13, s1
	s_clause 0x4
	global_load_b128 v[24:27], v[2:3], off
	global_load_b128 v[20:23], v[0:1], off
	;; [unrolled: 1-line block ×5, first 2 shown]
.LBB0_11:
	s_wait_alu 0xfffe
	s_or_b32 exec_lo, exec_lo, s2
	s_wait_loadcnt 0x0
	v_add_f64_e64 v[72:73], v[30:31], -v[10:11]
	s_mov_b32 s20, 0x4bc48dbf
	s_mov_b32 s21, 0xbfcea1e5
	v_add_f64_e32 v[86:87], v[28:29], v[8:9]
	v_add_f64_e64 v[70:71], v[50:51], -v[14:15]
	s_mov_b32 s18, 0x93053d00
	s_mov_b32 s22, 0x4267c47c
	s_mov_b32 s19, 0xbfef11f4
	s_mov_b32 s23, 0x3fddbe06
	v_add_f64_e32 v[90:91], v[12:13], v[48:49]
	v_add_f64_e64 v[66:67], v[46:47], -v[18:19]
	s_mov_b32 s16, 0xe00740e9
	s_mov_b32 s24, 0x24c2f84
	;; [unrolled: 6-line block ×4, first 2 shown]
	s_mov_b32 s13, 0x3fe22d96
	s_mov_b32 s29, 0xbfedeba7
	v_add_f64_e32 v[76:77], v[24:25], v[36:37]
	s_mov_b32 s6, 0xb2365da1
	s_mov_b32 s30, 0x66966769
	;; [unrolled: 1-line block ×4, first 2 shown]
	v_add_f64_e32 v[64:65], v[40:41], v[32:33]
	s_mov_b32 s2, 0xebaa3ed8
	s_mov_b32 s3, 0x3fbedb7d
	s_wait_alu 0xfffe
	v_mul_f64_e32 v[84:85], s[20:21], v[72:73]
	v_mul_f64_e32 v[82:83], s[22:23], v[70:71]
	;; [unrolled: 1-line block ×5, first 2 shown]
	v_fma_f64 v[0:1], v[86:87], s[18:19], -v[84:85]
	v_fma_f64 v[2:3], v[90:91], s[16:17], -v[82:83]
	;; [unrolled: 1-line block ×3, first 2 shown]
	s_delay_alu instid0(VALU_DEP_4) | instskip(NEXT) | instid1(VALU_DEP_4)
	v_fma_f64 v[93:94], v[76:77], s[6:7], -v[62:63]
	v_add_f64_e32 v[0:1], v[0:1], v[4:5]
	s_delay_alu instid0(VALU_DEP_1) | instskip(SKIP_1) | instid1(VALU_DEP_2)
	v_add_f64_e32 v[0:1], v[2:3], v[0:1]
	v_fma_f64 v[2:3], v[80:81], s[12:13], -v[74:75]
	v_add_f64_e32 v[60:61], v[60:61], v[0:1]
	v_add_f64_e64 v[0:1], v[42:43], -v[34:35]
	s_delay_alu instid0(VALU_DEP_2) | instskip(NEXT) | instid1(VALU_DEP_2)
	v_add_f64_e32 v[2:3], v[2:3], v[60:61]
	v_mul_f64_e32 v[60:61], s[30:31], v[0:1]
	s_delay_alu instid0(VALU_DEP_2) | instskip(NEXT) | instid1(VALU_DEP_2)
	v_add_f64_e32 v[2:3], v[93:94], v[2:3]
	v_fma_f64 v[93:94], v[64:65], s[2:3], -v[60:61]
	s_delay_alu instid0(VALU_DEP_1)
	v_add_f64_e32 v[2:3], v[93:94], v[2:3]
	s_and_saveexec_b32 s1, s0
	s_cbranch_execz .LBB0_13
; %bb.12:
	v_add_f64_e32 v[93:94], v[28:29], v[4:5]
	v_mul_f64_e32 v[95:96], s[18:19], v[86:87]
	v_mul_f64_e32 v[97:98], s[14:15], v[86:87]
	;; [unrolled: 1-line block ×6, first 2 shown]
	s_mov_b32 s37, 0x3fedeba7
	s_mov_b32 s36, s28
	;; [unrolled: 1-line block ×4, first 2 shown]
	v_mul_f64_e32 v[105:106], s[16:17], v[90:91]
	v_mul_f64_e32 v[107:108], s[2:3], v[90:91]
	;; [unrolled: 1-line block ×6, first 2 shown]
	s_mov_b32 s45, 0xbfefc445
	s_mov_b32 s44, s30
	;; [unrolled: 1-line block ×8, first 2 shown]
	v_mul_f64_e32 v[123:124], s[12:13], v[88:89]
	v_mul_f64_e32 v[125:126], s[16:17], v[88:89]
	;; [unrolled: 1-line block ×7, first 2 shown]
	v_add_f64_e32 v[93:94], v[48:49], v[93:94]
	v_add_f64_e32 v[84:85], v[84:85], v[95:96]
	v_fma_f64 v[95:96], v[72:73], s[38:39], v[97:98]
	v_fma_f64 v[97:98], v[72:73], s[24:25], v[97:98]
	;; [unrolled: 1-line block ×10, first 2 shown]
	v_mul_f64_e32 v[86:87], s[14:15], v[88:89]
	v_mul_f64_e32 v[88:89], s[2:3], v[88:89]
	v_add_f64_e32 v[82:83], v[82:83], v[105:106]
	v_fma_f64 v[105:106], v[70:71], s[44:45], v[107:108]
	v_fma_f64 v[107:108], v[70:71], s[30:31], v[107:108]
	;; [unrolled: 1-line block ×16, first 2 shown]
	v_add_f64_e32 v[93:94], v[44:45], v[93:94]
	v_add_f64_e32 v[84:85], v[84:85], v[4:5]
	;; [unrolled: 1-line block ×12, first 2 shown]
	v_mul_f64_e32 v[72:73], s[12:13], v[80:81]
	v_mul_f64_e32 v[121:122], s[18:19], v[80:81]
	;; [unrolled: 1-line block ×3, first 2 shown]
	v_add_f64_e32 v[78:79], v[78:79], v[86:87]
	v_fma_f64 v[86:87], v[66:67], s[26:27], v[123:124]
	v_fma_f64 v[123:124], v[66:67], s[40:41], v[123:124]
	;; [unrolled: 1-line block ×4, first 2 shown]
	v_add_f64_e32 v[93:94], v[52:53], v[93:94]
	v_add_f64_e32 v[82:83], v[82:83], v[84:85]
	;; [unrolled: 1-line block ×12, first 2 shown]
	v_mul_f64_e32 v[105:106], s[6:7], v[76:77]
	v_mul_f64_e32 v[107:108], s[16:17], v[76:77]
	;; [unrolled: 1-line block ×6, first 2 shown]
	v_add_f64_e32 v[72:73], v[74:75], v[72:73]
	v_fma_f64 v[74:75], v[58:59], s[20:21], v[121:122]
	v_fma_f64 v[115:116], v[58:59], s[42:43], v[121:122]
	;; [unrolled: 1-line block ×10, first 2 shown]
	v_add_f64_e32 v[93:94], v[36:37], v[93:94]
	v_add_f64_e32 v[78:79], v[78:79], v[82:83]
	;; [unrolled: 1-line block ×12, first 2 shown]
	v_mul_f64_e32 v[97:98], s[2:3], v[64:65]
	v_mul_f64_e32 v[99:100], s[6:7], v[64:65]
	;; [unrolled: 1-line block ×6, first 2 shown]
	v_add_f64_e32 v[62:63], v[62:63], v[105:106]
	v_fma_f64 v[105:106], v[56:57], s[34:35], v[107:108]
	v_fma_f64 v[107:108], v[56:57], s[22:23], v[107:108]
	;; [unrolled: 1-line block ×10, first 2 shown]
	v_add_f64_e32 v[93:94], v[40:41], v[93:94]
	v_add_f64_e32 v[72:73], v[72:73], v[78:79]
	;; [unrolled: 1-line block ×13, first 2 shown]
	v_fma_f64 v[88:89], v[0:1], s[36:37], v[99:100]
	v_fma_f64 v[90:91], v[0:1], s[28:29], v[99:100]
	;; [unrolled: 1-line block ×7, first 2 shown]
	v_add_f64_e32 v[93:94], v[32:33], v[93:94]
	v_add_f64_e32 v[62:63], v[62:63], v[72:73]
	;; [unrolled: 1-line block ×10, first 2 shown]
	s_delay_alu instid0(VALU_DEP_3) | instskip(NEXT) | instid1(VALU_DEP_3)
	v_add_f64_e32 v[4:5], v[115:116], v[4:5]
	v_add_f64_e32 v[93:94], v[20:21], v[93:94]
	s_delay_alu instid0(VALU_DEP_1)
	v_add_f64_e32 v[70:71], v[16:17], v[93:94]
	v_fma_f64 v[93:94], v[0:1], s[40:41], v[101:102]
	v_fma_f64 v[101:102], v[0:1], s[34:35], v[123:124]
	;; [unrolled: 1-line block ×3, first 2 shown]
	v_add_f64_e32 v[64:65], v[105:106], v[74:75]
	v_add_f64_e32 v[74:75], v[125:126], v[78:79]
	v_add_f64_e32 v[78:79], v[127:128], v[82:83]
	v_add_f64_e32 v[82:83], v[129:130], v[86:87]
	v_add_f64_e32 v[66:67], v[12:13], v[70:71]
	v_add_f64_e32 v[0:1], v[0:1], v[56:57]
	v_add_f64_e32 v[62:63], v[88:89], v[64:65]
	v_add_f64_e32 v[64:65], v[90:91], v[72:73]
	v_add_f64_e32 v[72:73], v[95:96], v[76:77]
	v_add_f64_e32 v[70:71], v[93:94], v[74:75]
	v_add_f64_e32 v[74:75], v[97:98], v[78:79]
	v_add_f64_e32 v[78:79], v[101:102], v[82:83]
	v_add_f64_e32 v[76:77], v[99:100], v[80:81]
	v_add_f64_e32 v[56:57], v[103:104], v[58:59]
	v_add_f64_e32 v[58:59], v[8:9], v[66:67]
	v_mad_u32_u24 v66, 0x68, v92, 0
	ds_store_2addr_b64 v66, v[72:73], v[64:65] offset0:4 offset1:5
	ds_store_2addr_b64 v66, v[60:61], v[2:3] offset0:6 offset1:7
	;; [unrolled: 1-line block ×5, first 2 shown]
	ds_store_2addr_b64 v66, v[58:59], v[0:1] offset1:1
	ds_store_b64 v66, v[4:5] offset:96
.LBB0_13:
	s_wait_alu 0xfffe
	s_or_b32 exec_lo, exec_lo, s1
	v_add_f64_e64 v[84:85], v[28:29], -v[8:9]
	v_add_f64_e32 v[78:79], v[30:31], v[10:11]
	v_add_f64_e64 v[82:83], v[48:49], -v[12:13]
	v_add_f64_e32 v[72:73], v[14:15], v[50:51]
	;; [unrolled: 2-line block ×5, first 2 shown]
	v_add_f64_e64 v[24:25], v[40:41], -v[32:33]
	v_lshl_add_u32 v86, v92, 3, 0
	global_wb scope:SCOPE_SE
	s_wait_dscnt 0x0
	s_barrier_signal -1
	s_barrier_wait -1
	global_inv scope:SCOPE_SE
	v_add_nc_u32_e32 v32, 0x400, v86
	v_add_nc_u32_e32 v33, 0xc00, v86
	v_mul_f64_e32 v[80:81], s[20:21], v[84:85]
	v_mul_f64_e32 v[74:75], s[22:23], v[82:83]
	;; [unrolled: 1-line block ×5, first 2 shown]
	v_fma_f64 v[0:1], v[78:79], s[18:19], v[80:81]
	v_fma_f64 v[4:5], v[72:73], s[16:17], v[74:75]
	;; [unrolled: 1-line block ×4, first 2 shown]
	s_delay_alu instid0(VALU_DEP_4) | instskip(NEXT) | instid1(VALU_DEP_1)
	v_add_f64_e32 v[0:1], v[0:1], v[6:7]
	v_add_f64_e32 v[0:1], v[0:1], v[4:5]
	;; [unrolled: 1-line block ×3, first 2 shown]
	s_delay_alu instid0(VALU_DEP_2) | instskip(SKIP_1) | instid1(VALU_DEP_2)
	v_add_f64_e32 v[0:1], v[8:9], v[0:1]
	v_fma_f64 v[8:9], v[16:17], s[6:7], v[20:21]
	v_add_f64_e32 v[0:1], v[12:13], v[0:1]
	v_mul_f64_e32 v[12:13], s[30:31], v[24:25]
	s_delay_alu instid0(VALU_DEP_2) | instskip(NEXT) | instid1(VALU_DEP_2)
	v_add_f64_e32 v[0:1], v[8:9], v[0:1]
	v_fma_f64 v[8:9], v[4:5], s[2:3], v[12:13]
	s_delay_alu instid0(VALU_DEP_1)
	v_add_f64_e32 v[8:9], v[8:9], v[0:1]
	ds_load_2addr_b64 v[56:59], v86 offset1:104
	ds_load_2addr_b64 v[64:67], v32 offset0:80 offset1:184
	ds_load_2addr_b64 v[60:63], v33 offset0:32 offset1:136
	ds_load_b64 v[0:1], v86 offset:4992
	global_wb scope:SCOPE_SE
	s_wait_dscnt 0x0
	s_barrier_signal -1
	s_barrier_wait -1
	global_inv scope:SCOPE_SE
	s_and_saveexec_b32 s33, s0
	s_cbranch_execz .LBB0_15
; %bb.14:
	v_add_f64_e32 v[30:31], v[30:31], v[6:7]
	s_mov_b32 s24, 0x2ef20147
	s_mov_b32 s28, 0x24c2f84
	v_mul_f64_e32 v[40:41], s[18:19], v[78:79]
	s_mov_b32 s1, 0xbfddbe06
	s_mov_b32 s0, 0x4267c47c
	;; [unrolled: 1-line block ×7, first 2 shown]
	s_wait_alu 0xfffe
	v_mul_f64_e32 v[87:88], s[28:29], v[84:85]
	s_mov_b32 s37, 0xbfefc445
	s_mov_b32 s20, 0xe00740e9
	;; [unrolled: 1-line block ×14, first 2 shown]
	v_mul_f64_e32 v[89:90], s[18:19], v[82:83]
	v_mul_f64_e32 v[93:94], s[24:25], v[82:83]
	s_wait_alu 0xfffe
	v_mul_f64_e32 v[95:96], s[34:35], v[82:83]
	v_mul_f64_e32 v[97:98], s[40:41], v[82:83]
	;; [unrolled: 1-line block ×3, first 2 shown]
	s_mov_b32 s27, 0x3fbedb7d
	s_mov_b32 s43, 0x3fedeba7
	s_mov_b32 s42, s24
	v_mul_f64_e32 v[107:108], s[34:35], v[76:77]
	v_mul_f64_e32 v[109:110], s[18:19], v[76:77]
	s_wait_alu 0xfffe
	v_mul_f64_e32 v[111:112], s[42:43], v[76:77]
	v_mul_f64_e32 v[121:122], s[40:41], v[70:71]
	v_add_f64_e32 v[30:31], v[50:51], v[30:31]
	v_mul_f64_e32 v[50:51], s[18:19], v[84:85]
	v_add_f64_e64 v[40:41], v[40:41], -v[80:81]
	v_fma_f64 v[103:104], v[78:79], s[30:31], -v[87:88]
	v_fma_f64 v[87:88], v[78:79], s[30:31], v[87:88]
	v_fma_f64 v[113:114], v[72:73], s[22:23], -v[93:94]
	v_fma_f64 v[93:94], v[72:73], s[22:23], v[93:94]
	;; [unrolled: 2-line block ×3, first 2 shown]
	v_fma_f64 v[119:120], v[72:73], s[26:27], -v[82:83]
	v_fma_f64 v[129:130], v[48:49], s[22:23], -v[111:112]
	v_fma_f64 v[111:112], v[48:49], s[22:23], v[111:112]
	v_add_f64_e32 v[30:31], v[46:47], v[30:31]
	v_mul_f64_e32 v[46:47], s[0:1], v[84:85]
	s_mov_b32 s1, 0x3fddbe06
	v_add_f64_e32 v[40:41], v[40:41], v[6:7]
	s_wait_alu 0xfffe
	v_mul_f64_e32 v[123:124], s[0:1], v[70:71]
	v_add_f64_e32 v[87:88], v[87:88], v[6:7]
	v_add_f64_e32 v[30:31], v[54:55], v[30:31]
	v_mul_f64_e32 v[54:55], s[24:25], v[84:85]
	v_mul_f64_e32 v[84:85], s[36:37], v[84:85]
	v_fma_f64 v[80:81], v[78:79], s[20:21], -v[46:47]
	v_fma_f64 v[46:47], v[78:79], s[20:21], v[46:47]
	v_add_f64_e32 v[30:31], v[38:39], v[30:31]
	v_mul_f64_e32 v[38:39], s[16:17], v[72:73]
	s_mov_b32 s16, 0x1ea71119
	s_mov_b32 s17, 0x3fe22d96
	v_fma_f64 v[101:102], v[78:79], s[22:23], -v[54:55]
	s_wait_alu 0xfffe
	v_fma_f64 v[99:100], v[78:79], s[16:17], -v[50:51]
	v_fma_f64 v[50:51], v[78:79], s[16:17], v[50:51]
	v_fma_f64 v[54:55], v[78:79], s[22:23], v[54:55]
	;; [unrolled: 1-line block ×3, first 2 shown]
	v_add_f64_e32 v[80:81], v[80:81], v[6:7]
	v_fma_f64 v[127:128], v[48:49], s[16:17], -v[109:110]
	v_fma_f64 v[109:110], v[48:49], s[16:17], v[109:110]
	v_add_f64_e32 v[30:31], v[42:43], v[30:31]
	v_fma_f64 v[42:43], v[78:79], s[26:27], -v[84:85]
	v_mul_f64_e32 v[78:79], s[14:15], v[48:49]
	s_mov_b32 s14, 0x93053d00
	s_mov_b32 s15, 0xbfef11f4
	v_mul_f64_e32 v[84:85], s[36:37], v[76:77]
	v_mul_f64_e32 v[76:77], s[0:1], v[76:77]
	v_add_f64_e64 v[38:39], v[38:39], -v[74:75]
	v_fma_f64 v[74:75], v[72:73], s[16:17], -v[89:90]
	v_fma_f64 v[89:90], v[72:73], s[16:17], v[89:90]
	s_wait_alu 0xfffe
	v_fma_f64 v[115:116], v[72:73], s[14:15], -v[95:96]
	v_fma_f64 v[95:96], v[72:73], s[14:15], v[95:96]
	v_fma_f64 v[72:73], v[72:73], s[26:27], v[82:83]
	v_add_f64_e32 v[82:83], v[99:100], v[6:7]
	v_add_f64_e32 v[50:51], v[50:51], v[6:7]
	v_add_f64_e32 v[99:100], v[101:102], v[6:7]
	v_add_f64_e32 v[101:102], v[103:104], v[6:7]
	v_add_f64_e32 v[54:55], v[54:55], v[6:7]
	v_add_f64_e32 v[103:104], v[105:106], v[6:7]
	v_mul_f64_e32 v[105:106], s[36:37], v[70:71]
	v_fma_f64 v[125:126], v[48:49], s[14:15], -v[107:108]
	v_fma_f64 v[107:108], v[48:49], s[14:15], v[107:108]
	v_add_f64_e32 v[30:31], v[34:35], v[30:31]
	v_add_f64_e32 v[34:35], v[42:43], v[6:7]
	;; [unrolled: 1-line block ×3, first 2 shown]
	v_mul_f64_e32 v[42:43], s[12:13], v[28:29]
	s_mov_b32 s13, 0x3fcea1e5
	s_mov_b32 s12, s34
	v_mul_f64_e32 v[46:47], s[24:25], v[70:71]
	s_wait_alu 0xfffe
	v_mul_f64_e32 v[70:71], s[12:13], v[70:71]
	v_add_f64_e64 v[52:53], v[78:79], -v[52:53]
	v_fma_f64 v[78:79], v[48:49], s[26:27], -v[84:85]
	v_fma_f64 v[84:85], v[48:49], s[26:27], v[84:85]
	v_fma_f64 v[131:132], v[48:49], s[20:21], -v[76:77]
	v_fma_f64 v[48:49], v[48:49], s[20:21], v[76:77]
	v_add_f64_e32 v[38:39], v[40:41], v[38:39]
	v_add_f64_e32 v[40:41], v[80:81], v[74:75]
	v_add_f64_e32 v[74:75], v[82:83], v[113:114]
	v_add_f64_e32 v[50:51], v[50:51], v[93:94]
	v_add_f64_e32 v[76:77], v[99:100], v[117:118]
	v_add_f64_e32 v[80:81], v[101:102], v[119:120]
	v_add_f64_e32 v[54:55], v[54:55], v[97:98]
	v_add_f64_e32 v[72:73], v[87:88], v[72:73]
	v_add_f64_e32 v[82:83], v[103:104], v[95:96]
	v_mul_f64_e32 v[87:88], s[28:29], v[44:45]
	v_mul_f64_e32 v[93:94], s[38:39], v[44:45]
	;; [unrolled: 1-line block ×3, first 2 shown]
	v_fma_f64 v[97:98], v[28:29], s[26:27], -v[105:106]
	v_fma_f64 v[99:100], v[28:29], s[26:27], v[105:106]
	v_fma_f64 v[101:102], v[28:29], s[30:31], -v[121:122]
	v_fma_f64 v[103:104], v[28:29], s[30:31], v[121:122]
	;; [unrolled: 2-line block ×3, first 2 shown]
	v_add_f64_e32 v[26:27], v[26:27], v[30:31]
	v_add_f64_e32 v[30:31], v[34:35], v[115:116]
	;; [unrolled: 1-line block ×3, first 2 shown]
	v_mul_f64_e32 v[34:35], s[6:7], v[16:17]
	v_mul_f64_e32 v[89:90], s[18:19], v[44:45]
	;; [unrolled: 1-line block ×3, first 2 shown]
	v_add_f64_e64 v[36:37], v[42:43], -v[36:37]
	v_fma_f64 v[42:43], v[28:29], s[22:23], -v[46:47]
	v_fma_f64 v[46:47], v[28:29], s[22:23], v[46:47]
	v_fma_f64 v[115:116], v[28:29], s[14:15], -v[70:71]
	v_fma_f64 v[28:29], v[28:29], s[14:15], v[70:71]
	s_mov_b32 s19, 0x3fea55e2
	v_add_f64_e32 v[38:39], v[52:53], v[38:39]
	v_add_f64_e32 v[40:41], v[78:79], v[40:41]
	v_add_f64_e32 v[52:53], v[125:126], v[74:75]
	v_add_f64_e32 v[50:51], v[107:108], v[50:51]
	v_add_f64_e32 v[70:71], v[131:132], v[76:77]
	v_add_f64_e32 v[74:75], v[127:128], v[80:81]
	v_add_f64_e32 v[48:49], v[48:49], v[54:55]
	v_add_f64_e32 v[54:55], v[109:110], v[72:73]
	v_add_f64_e32 v[72:73], v[111:112], v[82:83]
	v_mul_f64_e32 v[76:77], s[34:35], v[24:25]
	v_mul_f64_e32 v[78:79], s[28:29], v[24:25]
	;; [unrolled: 1-line block ×4, first 2 shown]
	s_wait_alu 0xfffe
	v_mul_f64_e32 v[24:25], s[18:19], v[24:25]
	v_fma_f64 v[107:108], v[16:17], s[26:27], -v[93:94]
	v_fma_f64 v[93:94], v[16:17], s[26:27], v[93:94]
	v_fma_f64 v[109:110], v[16:17], s[14:15], -v[95:96]
	v_fma_f64 v[95:96], v[16:17], s[14:15], v[95:96]
	v_add_f64_e32 v[22:23], v[22:23], v[26:27]
	v_add_f64_e32 v[26:27], v[129:130], v[30:31]
	;; [unrolled: 1-line block ×3, first 2 shown]
	v_mul_f64_e32 v[30:31], s[2:3], v[4:5]
	v_add_f64_e64 v[20:21], v[34:35], -v[20:21]
	v_fma_f64 v[34:35], v[16:17], s[30:31], -v[87:88]
	v_fma_f64 v[84:85], v[16:17], s[30:31], v[87:88]
	v_fma_f64 v[87:88], v[16:17], s[16:17], -v[89:90]
	v_fma_f64 v[89:90], v[16:17], s[16:17], v[89:90]
	;; [unrolled: 2-line block ×3, first 2 shown]
	v_add_f64_e32 v[36:37], v[36:37], v[38:39]
	v_add_f64_e32 v[38:39], v[42:43], v[40:41]
	;; [unrolled: 1-line block ×9, first 2 shown]
	v_fma_f64 v[54:55], v[4:5], s[30:31], v[78:79]
	v_fma_f64 v[70:71], v[4:5], s[22:23], -v[80:81]
	v_fma_f64 v[72:73], v[4:5], s[22:23], v[80:81]
	v_fma_f64 v[74:75], v[4:5], s[20:21], -v[82:83]
	v_add_f64_e32 v[18:19], v[18:19], v[22:23]
	v_add_f64_e32 v[22:23], v[105:106], v[26:27]
	;; [unrolled: 1-line block ×3, first 2 shown]
	v_add_f64_e64 v[12:13], v[30:31], -v[12:13]
	v_fma_f64 v[26:27], v[4:5], s[14:15], -v[76:77]
	v_fma_f64 v[30:31], v[4:5], s[14:15], v[76:77]
	v_fma_f64 v[46:47], v[4:5], s[30:31], -v[78:79]
	v_fma_f64 v[76:77], v[4:5], s[20:21], v[82:83]
	v_fma_f64 v[78:79], v[4:5], s[16:17], -v[24:25]
	v_fma_f64 v[4:5], v[4:5], s[16:17], v[24:25]
	v_add_f64_e32 v[20:21], v[20:21], v[36:37]
	v_add_f64_e32 v[24:25], v[34:35], v[38:39]
	;; [unrolled: 1-line block ×24, first 2 shown]
	v_mad_u32_u24 v18, 0x60, v92, v86
	ds_store_2addr_b64 v18, v[26:27], v[34:35] offset0:4 offset1:5
	ds_store_2addr_b64 v18, v[12:13], v[8:9] offset0:6 offset1:7
	;; [unrolled: 1-line block ×4, first 2 shown]
	ds_store_2addr_b64 v18, v[10:11], v[20:21] offset1:1
	ds_store_2addr_b64 v18, v[22:23], v[14:15] offset0:2 offset1:3
	ds_store_b64 v18, v[6:7] offset:96
.LBB0_15:
	s_or_b32 exec_lo, exec_lo, s33
	v_and_b32_e32 v4, 0xff, v92
	global_wb scope:SCOPE_SE
	s_wait_dscnt 0x0
	s_barrier_signal -1
	s_barrier_wait -1
	global_inv scope:SCOPE_SE
	v_mul_lo_u16 v4, 0x4f, v4
	s_mov_b32 s2, 0x37e14327
	s_mov_b32 s12, 0xe976ee23
	;; [unrolled: 1-line block ×4, first 2 shown]
	v_lshrrev_b16 v74, 10, v4
	s_mov_b32 s3, 0x3fe948f6
	s_mov_b32 s13, 0x3fe11646
	;; [unrolled: 1-line block ×4, first 2 shown]
	v_mul_lo_u16 v4, v74, 13
	s_mov_b32 s16, 0xaaaaaaaa
	s_mov_b32 s18, 0x5476071b
	;; [unrolled: 1-line block ×4, first 2 shown]
	v_sub_nc_u16 v4, v92, v4
	s_mov_b32 s19, 0x3fe77f67
	s_mov_b32 s21, 0xbfe77f67
	s_mov_b32 s23, 0xbfd5d0dc
	s_mov_b32 s25, 0x3fd5d0dc
	v_and_b32_e32 v75, 0xff, v4
	s_wait_alu 0xfffe
	s_mov_b32 s20, s18
	s_mov_b32 s24, s22
	;; [unrolled: 1-line block ×4, first 2 shown]
	v_mul_u32_u24_e32 v4, 6, v75
	v_cmp_gt_u32_e64 s0, 0x5b, v92
	s_delay_alu instid0(VALU_DEP_2)
	v_lshlrev_b32_e32 v4, 4, v4
	s_clause 0x5
	global_load_b128 v[10:13], v4, s[4:5]
	global_load_b128 v[14:17], v4, s[4:5] offset:16
	global_load_b128 v[18:21], v4, s[4:5] offset:80
	;; [unrolled: 1-line block ×5, first 2 shown]
	ds_load_2addr_b64 v[4:7], v86 offset1:104
	ds_load_2addr_b64 v[48:51], v32 offset0:80 offset1:184
	ds_load_b64 v[70:71], v86 offset:4992
	ds_load_2addr_b64 v[52:55], v33 offset0:32 offset1:136
	global_wb scope:SCOPE_SE
	s_wait_loadcnt_dscnt 0x0
	s_barrier_signal -1
	s_barrier_wait -1
	global_inv scope:SCOPE_SE
	v_mul_f64_e32 v[22:23], v[6:7], v[12:13]
	v_mul_f64_e32 v[24:25], v[48:49], v[16:17]
	;; [unrolled: 1-line block ×12, first 2 shown]
	v_fma_f64 v[22:23], v[58:59], v[10:11], v[22:23]
	v_fma_f64 v[26:27], v[64:65], v[14:15], v[24:25]
	;; [unrolled: 1-line block ×4, first 2 shown]
	v_fma_f64 v[6:7], v[6:7], v[10:11], -v[12:13]
	v_fma_f64 v[32:33], v[48:49], v[14:15], -v[16:17]
	v_fma_f64 v[28:29], v[66:67], v[40:41], v[34:35]
	v_fma_f64 v[34:35], v[50:51], v[40:41], -v[42:43]
	v_fma_f64 v[40:41], v[54:55], v[36:37], -v[38:39]
	v_fma_f64 v[36:37], v[60:61], v[44:45], v[72:73]
	v_fma_f64 v[38:39], v[52:53], v[44:45], -v[46:47]
	v_fma_f64 v[42:43], v[70:71], v[18:19], -v[20:21]
	v_add_f64_e32 v[0:1], v[22:23], v[24:25]
	v_add_f64_e32 v[12:13], v[26:27], v[30:31]
	v_add_f64_e64 v[10:11], v[32:33], -v[40:41]
	v_add_f64_e32 v[14:15], v[28:29], v[36:37]
	v_add_f64_e64 v[16:17], v[38:39], -v[34:35]
	v_add_f64_e64 v[18:19], v[6:7], -v[42:43]
	v_add_f64_e32 v[20:21], v[12:13], v[0:1]
	s_delay_alu instid0(VALU_DEP_4) | instskip(NEXT) | instid1(VALU_DEP_4)
	v_add_f64_e64 v[44:45], v[0:1], -v[14:15]
	v_add_f64_e64 v[46:47], v[16:17], -v[10:11]
	s_delay_alu instid0(VALU_DEP_4)
	v_add_f64_e64 v[48:49], v[10:11], -v[18:19]
	v_add_f64_e32 v[50:51], v[16:17], v[10:11]
	v_add_f64_e64 v[16:17], v[18:19], -v[16:17]
	v_add_f64_e64 v[0:1], v[12:13], -v[0:1]
	v_add_f64_e32 v[20:21], v[14:15], v[20:21]
	v_add_f64_e64 v[14:15], v[14:15], -v[12:13]
	v_mul_f64_e32 v[44:45], s[2:3], v[44:45]
	v_mul_f64_e32 v[46:47], s[12:13], v[46:47]
	v_mul_f64_e32 v[52:53], s[6:7], v[48:49]
	v_add_f64_e32 v[18:19], v[50:51], v[18:19]
	v_add_f64_e32 v[10:11], v[56:57], v[20:21]
	v_mul_f64_e32 v[12:13], s[14:15], v[14:15]
	v_fma_f64 v[14:15], v[14:15], s[14:15], v[44:45]
	v_fma_f64 v[50:51], v[16:17], s[22:23], v[46:47]
	v_fma_f64 v[46:47], v[48:49], s[6:7], -v[46:47]
	s_wait_alu 0xfffe
	v_fma_f64 v[16:17], v[16:17], s[24:25], -v[52:53]
	v_fma_f64 v[44:45], v[0:1], s[20:21], -v[44:45]
	v_fma_f64 v[20:21], v[20:21], s[16:17], v[10:11]
	v_fma_f64 v[0:1], v[0:1], s[18:19], -v[12:13]
	v_fma_f64 v[48:49], v[18:19], s[26:27], v[50:51]
	v_fma_f64 v[46:47], v[18:19], s[26:27], v[46:47]
	;; [unrolled: 1-line block ×3, first 2 shown]
	v_add_f64_e32 v[50:51], v[14:15], v[20:21]
	v_add_f64_e32 v[44:45], v[44:45], v[20:21]
	;; [unrolled: 1-line block ×3, first 2 shown]
	s_delay_alu instid0(VALU_DEP_3) | instskip(NEXT) | instid1(VALU_DEP_3)
	v_add_f64_e32 v[12:13], v[48:49], v[50:51]
	v_add_f64_e32 v[18:19], v[16:17], v[44:45]
	s_delay_alu instid0(VALU_DEP_3)
	v_add_f64_e64 v[20:21], v[0:1], -v[46:47]
	v_add_f64_e32 v[14:15], v[46:47], v[0:1]
	v_add_f64_e64 v[16:17], v[44:45], -v[16:17]
	v_add_f64_e64 v[0:1], v[50:51], -v[48:49]
	v_and_b32_e32 v44, 0xffff, v74
	v_lshlrev_b32_e32 v45, 3, v75
	s_delay_alu instid0(VALU_DEP_2) | instskip(NEXT) | instid1(VALU_DEP_1)
	v_mul_u32_u24_e32 v44, 0x2d8, v44
	v_add3_u32 v44, 0, v44, v45
	ds_store_2addr_b64 v44, v[10:11], v[12:13] offset1:13
	ds_store_2addr_b64 v44, v[18:19], v[20:21] offset0:26 offset1:39
	ds_store_2addr_b64 v44, v[14:15], v[16:17] offset0:52 offset1:65
	ds_store_b64 v44, v[0:1] offset:624
	global_wb scope:SCOPE_SE
	s_wait_dscnt 0x0
	s_barrier_signal -1
	s_barrier_wait -1
	global_inv scope:SCOPE_SE
	s_and_saveexec_b32 s1, s0
	s_cbranch_execz .LBB0_17
; %bb.16:
	v_add_nc_u32_e32 v0, 0x400, v86
	v_add_nc_u32_e32 v1, 0x800, v86
	;; [unrolled: 1-line block ×3, first 2 shown]
	ds_load_2addr_b64 v[10:13], v86 offset1:91
	ds_load_2addr_b64 v[18:21], v0 offset0:54 offset1:145
	ds_load_2addr_b64 v[14:17], v1 offset0:108 offset1:199
	ds_load_2addr_b64 v[0:3], v2 offset0:34 offset1:125
.LBB0_17:
	s_wait_alu 0xfffe
	s_or_b32 exec_lo, exec_lo, s1
	v_add_f64_e32 v[6:7], v[6:7], v[42:43]
	v_add_f64_e32 v[32:33], v[32:33], v[40:41]
	v_add_f64_e64 v[26:27], v[26:27], -v[30:31]
	v_add_f64_e32 v[30:31], v[34:35], v[38:39]
	v_add_f64_e64 v[28:29], v[36:37], -v[28:29]
	v_add_f64_e64 v[24:25], v[22:23], -v[24:25]
	global_wb scope:SCOPE_SE
	s_wait_dscnt 0x0
	s_barrier_signal -1
	s_barrier_wait -1
	global_inv scope:SCOPE_SE
	v_add_f64_e32 v[22:23], v[32:33], v[6:7]
	v_add_f64_e64 v[34:35], v[6:7], -v[30:31]
	v_add_f64_e64 v[36:37], v[28:29], -v[26:27]
	;; [unrolled: 1-line block ×3, first 2 shown]
	v_add_f64_e32 v[26:27], v[28:29], v[26:27]
	v_add_f64_e64 v[28:29], v[24:25], -v[28:29]
	v_add_f64_e32 v[40:41], v[30:31], v[22:23]
	v_add_f64_e64 v[30:31], v[30:31], -v[32:33]
	v_mul_f64_e32 v[34:35], s[2:3], v[34:35]
	v_mul_f64_e32 v[36:37], s[12:13], v[36:37]
	v_mul_f64_e32 v[42:43], s[6:7], v[38:39]
	v_add_f64_e32 v[24:25], v[26:27], v[24:25]
	v_add_f64_e32 v[22:23], v[4:5], v[40:41]
	v_add_f64_e64 v[4:5], v[32:33], -v[6:7]
	v_mul_f64_e32 v[6:7], s[14:15], v[30:31]
	v_fma_f64 v[26:27], v[30:31], s[14:15], v[34:35]
	v_fma_f64 v[30:31], v[28:29], s[22:23], v[36:37]
	v_fma_f64 v[32:33], v[38:39], s[6:7], -v[36:37]
	v_fma_f64 v[28:29], v[28:29], s[24:25], -v[42:43]
	v_fma_f64 v[36:37], v[40:41], s[16:17], v[22:23]
	v_fma_f64 v[34:35], v[4:5], s[20:21], -v[34:35]
	v_fma_f64 v[4:5], v[4:5], s[18:19], -v[6:7]
	v_fma_f64 v[6:7], v[24:25], s[26:27], v[30:31]
	v_fma_f64 v[30:31], v[24:25], s[26:27], v[32:33]
	;; [unrolled: 1-line block ×3, first 2 shown]
	v_add_f64_e32 v[38:39], v[26:27], v[36:37]
	v_add_f64_e32 v[34:35], v[34:35], v[36:37]
	;; [unrolled: 1-line block ×3, first 2 shown]
	s_delay_alu instid0(VALU_DEP_3) | instskip(NEXT) | instid1(VALU_DEP_3)
	v_add_f64_e64 v[24:25], v[38:39], -v[6:7]
	v_add_f64_e64 v[26:27], v[34:35], -v[32:33]
	s_delay_alu instid0(VALU_DEP_3)
	v_add_f64_e32 v[28:29], v[30:31], v[4:5]
	v_add_f64_e64 v[30:31], v[4:5], -v[30:31]
	v_add_f64_e32 v[32:33], v[32:33], v[34:35]
	v_add_f64_e32 v[6:7], v[6:7], v[38:39]
	ds_store_2addr_b64 v44, v[22:23], v[24:25] offset1:13
	ds_store_2addr_b64 v44, v[26:27], v[28:29] offset0:26 offset1:39
	ds_store_2addr_b64 v44, v[30:31], v[32:33] offset0:52 offset1:65
	ds_store_b64 v44, v[6:7] offset:624
	global_wb scope:SCOPE_SE
	s_wait_dscnt 0x0
	s_barrier_signal -1
	s_barrier_wait -1
	global_inv scope:SCOPE_SE
	s_and_saveexec_b32 s1, s0
	s_cbranch_execnz .LBB0_20
; %bb.18:
	s_wait_alu 0xfffe
	s_or_b32 exec_lo, exec_lo, s1
	s_and_b32 s0, vcc_lo, s0
	s_wait_alu 0xfffe
	s_and_saveexec_b32 s1, s0
	s_cbranch_execnz .LBB0_21
.LBB0_19:
	s_endpgm
.LBB0_20:
	v_add_nc_u32_e32 v4, 0x400, v86
	v_add_nc_u32_e32 v5, 0x800, v86
	;; [unrolled: 1-line block ×3, first 2 shown]
	ds_load_2addr_b64 v[22:25], v86 offset1:91
	ds_load_2addr_b64 v[26:29], v4 offset0:54 offset1:145
	ds_load_2addr_b64 v[30:33], v5 offset0:108 offset1:199
	;; [unrolled: 1-line block ×3, first 2 shown]
	s_wait_alu 0xfffe
	s_or_b32 exec_lo, exec_lo, s1
	s_and_b32 s0, vcc_lo, s0
	s_wait_alu 0xfffe
	s_and_saveexec_b32 s1, s0
	s_cbranch_execz .LBB0_19
.LBB0_21:
	v_mul_u32_u24_e32 v4, 7, v92
	s_mov_b32 s0, 0x667f3bcd
	s_mov_b32 s1, 0x3fe6a09e
	;; [unrolled: 1-line block ×3, first 2 shown]
	s_wait_alu 0xfffe
	s_mov_b32 s2, s0
	v_lshlrev_b32_e32 v4, 4, v4
	s_clause 0x6
	global_load_b128 v[34:37], v4, s[4:5] offset:1296
	global_load_b128 v[38:41], v4, s[4:5] offset:1264
	;; [unrolled: 1-line block ×7, first 2 shown]
	s_wait_loadcnt 0x6
	v_mul_f64_e32 v[4:5], v[14:15], v[36:37]
	s_wait_loadcnt_dscnt 0x502
	v_mul_f64_e32 v[62:63], v[26:27], v[40:41]
	s_wait_loadcnt_dscnt 0x400
	v_mul_f64_e32 v[64:65], v[6:7], v[44:45]
	s_wait_loadcnt 0x3
	v_mul_f64_e32 v[66:67], v[12:13], v[48:49]
	s_wait_loadcnt 0x2
	;; [unrolled: 2-line block ×4, first 2 shown]
	v_mul_f64_e32 v[74:75], v[8:9], v[60:61]
	v_mul_f64_e32 v[48:49], v[24:25], v[48:49]
	v_mul_f64_e32 v[52:53], v[32:33], v[52:53]
	v_mul_f64_e32 v[56:57], v[20:21], v[56:57]
	v_mul_f64_e32 v[60:61], v[2:3], v[60:61]
	v_mul_f64_e32 v[40:41], v[18:19], v[40:41]
	v_mul_f64_e32 v[44:45], v[0:1], v[44:45]
	v_mul_f64_e32 v[36:37], v[30:31], v[36:37]
	v_fma_f64 v[4:5], v[30:31], v[34:35], -v[4:5]
	v_fma_f64 v[18:19], v[18:19], v[38:39], v[62:63]
	v_fma_f64 v[0:1], v[0:1], v[42:43], v[64:65]
	v_fma_f64 v[24:25], v[24:25], v[46:47], -v[66:67]
	v_fma_f64 v[30:31], v[32:33], v[50:51], -v[70:71]
	v_fma_f64 v[20:21], v[20:21], v[54:55], v[72:73]
	v_fma_f64 v[2:3], v[2:3], v[58:59], v[74:75]
	;; [unrolled: 1-line block ×4, first 2 shown]
	v_fma_f64 v[28:29], v[28:29], v[54:55], -v[56:57]
	v_fma_f64 v[8:9], v[8:9], v[58:59], -v[60:61]
	;; [unrolled: 1-line block ×4, first 2 shown]
	v_fma_f64 v[14:15], v[14:15], v[34:35], v[36:37]
	v_add_co_u32 v62, vcc_lo, s10, v68
	s_wait_alu 0xfffd
	v_add_co_ci_u32_e32 v63, vcc_lo, s11, v69, vcc_lo
	v_add_nc_u32_e32 v69, 0x222, v92
	v_add_nc_u32_e32 v70, 0x27d, v92
	;; [unrolled: 1-line block ×3, first 2 shown]
	s_delay_alu instid0(VALU_DEP_3) | instskip(SKIP_1) | instid1(VALU_DEP_4)
	v_mad_co_u64_u32 v[56:57], null, s8, v69, 0
	v_add_nc_u32_e32 v67, 0x16c, v92
	v_mad_co_u64_u32 v[58:59], null, s8, v70, 0
	s_delay_alu instid0(VALU_DEP_4)
	v_mad_co_u64_u32 v[54:55], null, s8, v68, 0
	v_add_f64_e64 v[4:5], v[22:23], -v[4:5]
	v_add_f64_e64 v[0:1], v[18:19], -v[0:1]
	v_add_f64_e64 v[30:31], v[24:25], -v[30:31]
	v_add_f64_e64 v[2:3], v[20:21], -v[2:3]
	v_add_f64_e64 v[16:17], v[12:13], -v[16:17]
	v_add_f64_e64 v[8:9], v[28:29], -v[8:9]
	v_add_f64_e64 v[6:7], v[26:27], -v[6:7]
	v_add_f64_e64 v[14:15], v[10:11], -v[14:15]
	v_fma_f64 v[22:23], v[22:23], 2.0, -v[4:5]
	v_add_f64_e64 v[32:33], v[4:5], -v[0:1]
	v_fma_f64 v[0:1], v[18:19], 2.0, -v[0:1]
	v_fma_f64 v[24:25], v[24:25], 2.0, -v[30:31]
	v_add_f64_e64 v[34:35], v[30:31], -v[2:3]
	v_fma_f64 v[2:3], v[20:21], 2.0, -v[2:3]
	v_fma_f64 v[12:13], v[12:13], 2.0, -v[16:17]
	v_add_f64_e32 v[36:37], v[16:17], v[8:9]
	v_fma_f64 v[8:9], v[28:29], 2.0, -v[8:9]
	v_mad_co_u64_u32 v[28:29], null, s8, v92, 0
	v_add_f64_e32 v[38:39], v[14:15], v[6:7]
	v_fma_f64 v[6:7], v[26:27], 2.0, -v[6:7]
	v_fma_f64 v[10:11], v[10:11], 2.0, -v[14:15]
	v_add_nc_u32_e32 v65, 0xb6, v92
	v_fma_f64 v[20:21], v[4:5], 2.0, -v[32:33]
	v_fma_f64 v[4:5], v[30:31], 2.0, -v[34:35]
	;; [unrolled: 1-line block ×3, first 2 shown]
	v_add_f64_e64 v[18:19], v[24:25], -v[8:9]
	v_fma_f64 v[40:41], v[14:15], 2.0, -v[38:39]
	v_add_f64_e64 v[26:27], v[22:23], -v[6:7]
	v_mov_b32_e32 v6, v29
	v_add_f64_e64 v[42:43], v[10:11], -v[0:1]
	v_add_f64_e64 v[0:1], v[12:13], -v[2:3]
	v_fma_f64 v[2:3], v[34:35], s[0:1], v[32:33]
	v_fma_f64 v[30:31], v[36:37], s[0:1], v[38:39]
	v_mad_co_u64_u32 v[60:61], null, s9, v92, v[6:7]
	v_mad_co_u64_u32 v[48:49], null, s8, v65, 0
	s_delay_alu instid0(VALU_DEP_1)
	v_mov_b32_e32 v29, v49
	s_wait_alu 0xfffe
	v_fma_f64 v[8:9], v[4:5], s[2:3], v[20:21]
	v_fma_f64 v[14:15], v[24:25], 2.0, -v[18:19]
	v_fma_f64 v[44:45], v[16:17], s[2:3], v[40:41]
	v_fma_f64 v[46:47], v[22:23], 2.0, -v[26:27]
	v_fma_f64 v[24:25], v[10:11], 2.0, -v[42:43]
	;; [unrolled: 1-line block ×3, first 2 shown]
	v_add_f64_e64 v[6:7], v[26:27], -v[0:1]
	v_fma_f64 v[2:3], v[36:37], s[2:3], v[2:3]
	v_fma_f64 v[0:1], v[34:35], s[0:1], v[30:31]
	v_mad_co_u64_u32 v[30:31], null, s9, v65, v[29:30]
	v_mov_b32_e32 v29, v60
	s_delay_alu instid0(VALU_DEP_1)
	v_lshlrev_b64_e32 v[60:61], 4, v[28:29]
	v_fma_f64 v[10:11], v[16:17], s[2:3], v[8:9]
	v_mov_b32_e32 v16, v57
	v_mad_co_u64_u32 v[52:53], null, s8, v67, 0
	v_dual_mov_b32 v17, v59 :: v_dual_add_nc_u32 v66, 0x111, v92
	v_fma_f64 v[8:9], v[4:5], s[0:1], v[44:45]
	v_add_f64_e64 v[14:15], v[46:47], -v[14:15]
	v_add_f64_e32 v[4:5], v[42:43], v[18:19]
	s_delay_alu instid0(VALU_DEP_4) | instskip(SKIP_3) | instid1(VALU_DEP_4)
	v_mad_co_u64_u32 v[50:51], null, s8, v66, 0
	v_add_f64_e64 v[12:13], v[24:25], -v[12:13]
	v_add_nc_u32_e32 v64, 0x5b, v92
	v_mad_co_u64_u32 v[44:45], null, s9, v69, v[16:17]
	v_mov_b32_e32 v49, v51
	s_delay_alu instid0(VALU_DEP_3) | instskip(SKIP_2) | instid1(VALU_DEP_4)
	v_mad_co_u64_u32 v[22:23], null, s8, v64, 0
	v_mov_b32_e32 v51, v53
	v_mov_b32_e32 v53, v55
	v_mad_co_u64_u32 v[34:35], null, s9, v66, v[49:50]
	v_mov_b32_e32 v49, v30
	s_delay_alu instid0(VALU_DEP_4)
	v_mad_co_u64_u32 v[35:36], null, s9, v67, v[51:52]
	v_mad_co_u64_u32 v[18:19], null, s9, v64, v[23:24]
	;; [unrolled: 1-line block ×3, first 2 shown]
	v_mov_b32_e32 v51, v34
	v_mov_b32_e32 v57, v44
	v_mov_b32_e32 v53, v35
	v_mad_co_u64_u32 v[16:17], null, s9, v70, v[17:18]
	v_mov_b32_e32 v23, v18
	v_fma_f64 v[18:19], v[32:33], 2.0, -v[2:3]
	v_mov_b32_e32 v55, v36
	v_lshlrev_b64_e32 v[36:37], 4, v[48:49]
	v_lshlrev_b64_e32 v[44:45], 4, v[50:51]
	;; [unrolled: 1-line block ×3, first 2 shown]
	v_fma_f64 v[22:23], v[26:27], 2.0, -v[6:7]
	v_fma_f64 v[26:27], v[20:21], 2.0, -v[10:11]
	;; [unrolled: 1-line block ×4, first 2 shown]
	v_mov_b32_e32 v59, v16
	v_fma_f64 v[16:17], v[38:39], 2.0, -v[0:1]
	v_fma_f64 v[28:29], v[24:25], 2.0, -v[12:13]
	;; [unrolled: 1-line block ×3, first 2 shown]
	v_add_co_u32 v40, vcc_lo, v62, v60
	s_wait_alu 0xfffd
	v_add_co_ci_u32_e32 v41, vcc_lo, v63, v61, vcc_lo
	v_add_co_u32 v34, vcc_lo, v62, v34
	s_wait_alu 0xfffd
	v_add_co_ci_u32_e32 v35, vcc_lo, v63, v35, vcc_lo
	v_lshlrev_b64_e32 v[48:49], 4, v[52:53]
	v_add_co_u32 v36, vcc_lo, v62, v36
	s_wait_alu 0xfffd
	v_add_co_ci_u32_e32 v37, vcc_lo, v63, v37, vcc_lo
	v_lshlrev_b64_e32 v[50:51], 4, v[54:55]
	;; [unrolled: 4-line block ×4, first 2 shown]
	v_add_co_u32 v46, vcc_lo, v62, v50
	s_wait_alu 0xfffd
	v_add_co_ci_u32_e32 v47, vcc_lo, v63, v51, vcc_lo
	v_add_co_u32 v32, vcc_lo, v62, v32
	s_wait_alu 0xfffd
	v_add_co_ci_u32_e32 v33, vcc_lo, v63, v33, vcc_lo
	;; [unrolled: 3-line block ×3, first 2 shown]
	s_clause 0x7
	global_store_b128 v[40:41], v[28:31], off
	global_store_b128 v[34:35], v[24:27], off
	;; [unrolled: 1-line block ×8, first 2 shown]
	s_nop 0
	s_sendmsg sendmsg(MSG_DEALLOC_VGPRS)
	s_endpgm
	.section	.rodata,"a",@progbits
	.p2align	6, 0x0
	.amdhsa_kernel fft_rtc_back_len728_factors_13_7_8_wgs_104_tpt_104_halfLds_dp_ip_CI_sbrr_dirReg
		.amdhsa_group_segment_fixed_size 0
		.amdhsa_private_segment_fixed_size 0
		.amdhsa_kernarg_size 88
		.amdhsa_user_sgpr_count 2
		.amdhsa_user_sgpr_dispatch_ptr 0
		.amdhsa_user_sgpr_queue_ptr 0
		.amdhsa_user_sgpr_kernarg_segment_ptr 1
		.amdhsa_user_sgpr_dispatch_id 0
		.amdhsa_user_sgpr_private_segment_size 0
		.amdhsa_wavefront_size32 1
		.amdhsa_uses_dynamic_stack 0
		.amdhsa_enable_private_segment 0
		.amdhsa_system_sgpr_workgroup_id_x 1
		.amdhsa_system_sgpr_workgroup_id_y 0
		.amdhsa_system_sgpr_workgroup_id_z 0
		.amdhsa_system_sgpr_workgroup_info 0
		.amdhsa_system_vgpr_workitem_id 0
		.amdhsa_next_free_vgpr 153
		.amdhsa_next_free_sgpr 46
		.amdhsa_reserve_vcc 1
		.amdhsa_float_round_mode_32 0
		.amdhsa_float_round_mode_16_64 0
		.amdhsa_float_denorm_mode_32 3
		.amdhsa_float_denorm_mode_16_64 3
		.amdhsa_fp16_overflow 0
		.amdhsa_workgroup_processor_mode 1
		.amdhsa_memory_ordered 1
		.amdhsa_forward_progress 0
		.amdhsa_round_robin_scheduling 0
		.amdhsa_exception_fp_ieee_invalid_op 0
		.amdhsa_exception_fp_denorm_src 0
		.amdhsa_exception_fp_ieee_div_zero 0
		.amdhsa_exception_fp_ieee_overflow 0
		.amdhsa_exception_fp_ieee_underflow 0
		.amdhsa_exception_fp_ieee_inexact 0
		.amdhsa_exception_int_div_zero 0
	.end_amdhsa_kernel
	.text
.Lfunc_end0:
	.size	fft_rtc_back_len728_factors_13_7_8_wgs_104_tpt_104_halfLds_dp_ip_CI_sbrr_dirReg, .Lfunc_end0-fft_rtc_back_len728_factors_13_7_8_wgs_104_tpt_104_halfLds_dp_ip_CI_sbrr_dirReg
                                        ; -- End function
	.section	.AMDGPU.csdata,"",@progbits
; Kernel info:
; codeLenInByte = 8220
; NumSgprs: 48
; NumVgprs: 153
; ScratchSize: 0
; MemoryBound: 1
; FloatMode: 240
; IeeeMode: 1
; LDSByteSize: 0 bytes/workgroup (compile time only)
; SGPRBlocks: 5
; VGPRBlocks: 19
; NumSGPRsForWavesPerEU: 48
; NumVGPRsForWavesPerEU: 153
; Occupancy: 9
; WaveLimiterHint : 1
; COMPUTE_PGM_RSRC2:SCRATCH_EN: 0
; COMPUTE_PGM_RSRC2:USER_SGPR: 2
; COMPUTE_PGM_RSRC2:TRAP_HANDLER: 0
; COMPUTE_PGM_RSRC2:TGID_X_EN: 1
; COMPUTE_PGM_RSRC2:TGID_Y_EN: 0
; COMPUTE_PGM_RSRC2:TGID_Z_EN: 0
; COMPUTE_PGM_RSRC2:TIDIG_COMP_CNT: 0
	.text
	.p2alignl 7, 3214868480
	.fill 96, 4, 3214868480
	.type	__hip_cuid_59b8951611d8b42f,@object ; @__hip_cuid_59b8951611d8b42f
	.section	.bss,"aw",@nobits
	.globl	__hip_cuid_59b8951611d8b42f
__hip_cuid_59b8951611d8b42f:
	.byte	0                               ; 0x0
	.size	__hip_cuid_59b8951611d8b42f, 1

	.ident	"AMD clang version 19.0.0git (https://github.com/RadeonOpenCompute/llvm-project roc-6.4.0 25133 c7fe45cf4b819c5991fe208aaa96edf142730f1d)"
	.section	".note.GNU-stack","",@progbits
	.addrsig
	.addrsig_sym __hip_cuid_59b8951611d8b42f
	.amdgpu_metadata
---
amdhsa.kernels:
  - .args:
      - .actual_access:  read_only
        .address_space:  global
        .offset:         0
        .size:           8
        .value_kind:     global_buffer
      - .offset:         8
        .size:           8
        .value_kind:     by_value
      - .actual_access:  read_only
        .address_space:  global
        .offset:         16
        .size:           8
        .value_kind:     global_buffer
      - .actual_access:  read_only
        .address_space:  global
        .offset:         24
        .size:           8
        .value_kind:     global_buffer
      - .offset:         32
        .size:           8
        .value_kind:     by_value
      - .actual_access:  read_only
        .address_space:  global
        .offset:         40
        .size:           8
        .value_kind:     global_buffer
      - .actual_access:  read_only
        .address_space:  global
        .offset:         48
        .size:           8
        .value_kind:     global_buffer
      - .offset:         56
        .size:           4
        .value_kind:     by_value
      - .actual_access:  read_only
        .address_space:  global
        .offset:         64
        .size:           8
        .value_kind:     global_buffer
      - .actual_access:  read_only
        .address_space:  global
        .offset:         72
        .size:           8
        .value_kind:     global_buffer
      - .address_space:  global
        .offset:         80
        .size:           8
        .value_kind:     global_buffer
    .group_segment_fixed_size: 0
    .kernarg_segment_align: 8
    .kernarg_segment_size: 88
    .language:       OpenCL C
    .language_version:
      - 2
      - 0
    .max_flat_workgroup_size: 104
    .name:           fft_rtc_back_len728_factors_13_7_8_wgs_104_tpt_104_halfLds_dp_ip_CI_sbrr_dirReg
    .private_segment_fixed_size: 0
    .sgpr_count:     48
    .sgpr_spill_count: 0
    .symbol:         fft_rtc_back_len728_factors_13_7_8_wgs_104_tpt_104_halfLds_dp_ip_CI_sbrr_dirReg.kd
    .uniform_work_group_size: 1
    .uses_dynamic_stack: false
    .vgpr_count:     153
    .vgpr_spill_count: 0
    .wavefront_size: 32
    .workgroup_processor_mode: 1
amdhsa.target:   amdgcn-amd-amdhsa--gfx1201
amdhsa.version:
  - 1
  - 2
...

	.end_amdgpu_metadata
